;; amdgpu-corpus repo=linkedin/Liger-Kernel kind=triton arch=gfx950 opt=O3 lang=triton
	.amdgcn_target "amdgcn-amd-amdhsa--gfx950"
	.amdhsa_code_object_version 5
	.text
	.globl	_dyt_fwd_kernel                 ; -- Begin function _dyt_fwd_kernel
	.p2align	8
	.type	_dyt_fwd_kernel,@function
_dyt_fwd_kernel:                        ; @_dyt_fwd_kernel
.Lfunc_begin0:
	.cfi_sections .debug_frame
	.cfi_startproc
; %bb.35:
	.file	1 "/root/src/amdgpu-assembly/repos/linkedin__Liger-Kernel/triton_aot_kernels" "dyt_aot.py"
	.loc	1 10 0 prologue_end             ; dyt_aot.py:10:0
	s_load_dwordx2 s[2:3], s[0:1], 0x0
	s_load_dwordx8 s[4:11], s[0:1], 0x8
	s_load_dwordx4 s[12:15], s[0:1], 0x28
	s_waitcnt lgkmcnt(0)
	s_branch .LBB0_0
	.loc	1 0 0 is_stmt 0                 ; :0:0
.Ltmp0:
	.p2align	8
; %bb.36:
.LBB0_0:
.Ltmp1:
	.loc	1 11 71 is_stmt 1               ; dyt_aot.py:11:71
	v_readfirstlane_b32 s0, v0
	s_mov_b32 s12, s17
	.loc	1 28 22                         ; dyt_aot.py:28:22
	s_and_b32 s13, s0, 0x1c0
	.loc	1 11 36                         ; dyt_aot.py:11:36
	s_ashr_i32 s17, s16, 31
	.loc	1 11 48 is_stmt 0               ; dyt_aot.py:11:48
	s_lshl_b64 s[0:1], s[16:17], 11
	.loc	1 11 71                         ; dyt_aot.py:11:71
	v_and_or_b32 v0, v0, 63, s13
	.loc	1 11 58                         ; dyt_aot.py:11:58
	v_or_b32_e32 v0, s0, v0
	v_mov_b32_e32 v1, s1
	s_mov_b64 s[14:15], 0x800
	.loc	1 19 20 is_stmt 1               ; dyt_aot.py:19:20
	v_mov_b32_e32 v8, 0
	.loc	1 12 17                         ; dyt_aot.py:12:17
	v_cmp_gt_i64_e32 vcc, s[14:15], v[0:1]
	.loc	1 19 28                         ; dyt_aot.py:19:28
	v_lshl_add_u64 v[2:3], v[0:1], 2, s[8:9]
	v_mov_b32_e32 v9, v8
	.loc	1 19 20 is_stmt 0               ; dyt_aot.py:19:20
	s_and_saveexec_b64 s[14:15], vcc
	s_cbranch_execz .LBB0_2
; %bb.1:
	global_load_dword v9, v[2:3], off
.LBB0_2:
	.loc	1 0 20                          ; dyt_aot.py:0:20
	s_or_b64 exec, exec, s[14:15]
	.loc	1 19 20                         ; dyt_aot.py:19:20
	s_and_saveexec_b64 s[14:15], vcc
	s_cbranch_execz .LBB0_4
; %bb.3:
	global_load_dword v8, v[2:3], off offset:2048
.LBB0_4:
	.loc	1 0 20                          ; dyt_aot.py:0:20
	s_or_b64 exec, exec, s[14:15]
	.loc	1 19 20                         ; dyt_aot.py:19:20
	v_mov_b32_e32 v10, 0
	.loc	1 11 58 is_stmt 1               ; dyt_aot.py:11:58
	v_or_b32_e32 v2, 0x400, v0
	v_mov_b32_e32 v3, s1
	v_mov_b32_e32 v11, v10
	.loc	1 19 20                         ; dyt_aot.py:19:20
	s_and_saveexec_b64 s[14:15], vcc
	s_cbranch_execz .LBB0_6
; %bb.5:
	.loc	1 19 28 is_stmt 0               ; dyt_aot.py:19:28
	v_lshl_add_u64 v[4:5], v[2:3], 2, s[8:9]
	.loc	1 19 20                         ; dyt_aot.py:19:20
	global_load_dword v11, v[4:5], off
.LBB0_6:
	.loc	1 0 20                          ; dyt_aot.py:0:20
	s_or_b64 exec, exec, s[14:15]
	.loc	1 11 58 is_stmt 1               ; dyt_aot.py:11:58
	v_or_b32_e32 v4, 0x600, v0
	v_mov_b32_e32 v5, s1
	.loc	1 19 20                         ; dyt_aot.py:19:20
	s_and_saveexec_b64 s[0:1], vcc
	s_cbranch_execz .LBB0_8
; %bb.7:
	.loc	1 19 28 is_stmt 0               ; dyt_aot.py:19:28
	v_lshl_add_u64 v[6:7], v[4:5], 2, s[8:9]
	.loc	1 19 20                         ; dyt_aot.py:19:20
	global_load_dword v10, v[6:7], off
.LBB0_8:
	.loc	1 0 20                          ; dyt_aot.py:0:20
	s_or_b64 exec, exec, s[0:1]
	.loc	1 13 39 is_stmt 1               ; dyt_aot.py:13:39
	s_ashr_i32 s13, s12, 31
	.loc	1 15 9                          ; dyt_aot.py:15:9
	s_lshl_b64 s[0:1], s[12:13], 13
	s_add_u32 s0, s2, s0
	s_addc_u32 s1, s3, s1
	.loc	1 21 16                         ; dyt_aot.py:21:16
	v_mov_b32_e32 v12, 0
	.loc	1 21 20 is_stmt 0               ; dyt_aot.py:21:20
	v_lshl_add_u64 v[6:7], v[0:1], 2, s[0:1]
	v_mov_b32_e32 v14, v12
	.loc	1 21 16                         ; dyt_aot.py:21:16
	s_and_saveexec_b64 s[2:3], vcc
	s_cbranch_execz .LBB0_10
; %bb.9:
	global_load_dword v14, v[6:7], off
.LBB0_10:
	.loc	1 0 16                          ; dyt_aot.py:0:16
	s_or_b64 exec, exec, s[2:3]
	.loc	1 21 16                         ; dyt_aot.py:21:16
	s_and_saveexec_b64 s[2:3], vcc
	s_cbranch_execz .LBB0_12
; %bb.11:
	global_load_dword v12, v[6:7], off offset:2048
.LBB0_12:
	.loc	1 0 16                          ; dyt_aot.py:0:16
	s_or_b64 exec, exec, s[2:3]
	.loc	1 21 16                         ; dyt_aot.py:21:16
	v_mov_b32_e32 v13, 0
	v_mov_b32_e32 v15, v13
	s_and_saveexec_b64 s[2:3], vcc
	s_cbranch_execz .LBB0_14
; %bb.13:
	.loc	1 21 20                         ; dyt_aot.py:21:20
	v_lshl_add_u64 v[6:7], v[2:3], 2, s[0:1]
	.loc	1 21 16                         ; dyt_aot.py:21:16
	global_load_dword v15, v[6:7], off
.LBB0_14:
	.loc	1 0 16                          ; dyt_aot.py:0:16
	s_or_b64 exec, exec, s[2:3]
	s_load_dword s6, s[6:7], 0x0
	.loc	1 21 16                         ; dyt_aot.py:21:16
	s_and_saveexec_b64 s[2:3], vcc
	s_cbranch_execz .LBB0_16
; %bb.15:
	.loc	1 21 20                         ; dyt_aot.py:21:20
	v_lshl_add_u64 v[6:7], v[4:5], 2, s[0:1]
	.loc	1 21 16                         ; dyt_aot.py:21:16
	global_load_dword v13, v[6:7], off
.LBB0_16:
	.loc	1 0 16                          ; dyt_aot.py:0:16
	s_or_b64 exec, exec, s[2:3]
	.loc	1 23 26 is_stmt 1               ; dyt_aot.py:23:26
	s_waitcnt vmcnt(0) lgkmcnt(0)
	v_mul_f32_e32 v6, s6, v14
	s_mov_b32 s0, 0x3f200000
	.loc	1 23 18 is_stmt 0               ; dyt_aot.py:23:18
	v_cmp_nlt_f32_e64 s[0:1], |v6|, s0
                                        ; implicit-def: $vgpr7
	s_and_saveexec_b64 s[2:3], s[0:1]
	s_xor_b64 s[2:3], exec, s[2:3]
	s_cbranch_execz .LBB0_18
; %bb.17:
	v_add_f32_e64 v7, |v6|, |v6|
	s_mov_b32 s0, 0x3fb8aa3b
	v_mul_f32_e32 v14, 0x3fb8aa3b, v7
	v_fma_f32 v16, v7, s0, -v14
	v_rndne_f32_e32 v14, v14
	v_fmamk_f32 v16, v7, 0x32a5705f, v16
	v_fma_f32 v17, v7, s0, -v14
	v_add_f32_e32 v16, v17, v16
	v_exp_f32_e32 v16, v16
	v_cvt_i32_f32_e32 v14, v14
	s_mov_b32 s0, 0xc2ce8ed0
	v_cmp_ngt_f32_e64 s[0:1], s0, v7
	v_ldexp_f32 v14, v16, v14
	s_nop 0
	v_cndmask_b32_e64 v14, 0, v14, s[0:1]
	s_mov_b32 s0, 0x42b17218
	v_mov_b32_e32 v16, 0x7f800000
	v_cmp_nlt_f32_e64 s[0:1], s0, v7
	s_nop 1
	v_cndmask_b32_e64 v7, v16, v14, s[0:1]
	v_add_f32_e32 v7, 1.0, v7
	v_rcp_f32_e32 v7, v7
	s_nop 0
	v_fma_f32 v7, v7, -2.0, 1.0
.LBB0_18:                               ; %Flow4
	.loc	1 0 18                          ; dyt_aot.py:0:18
	s_andn2_saveexec_b64 s[0:1], s[2:3]
; %bb.19:
	.loc	1 23 18 is_stmt 1               ; dyt_aot.py:23:18
	v_mul_f32_e32 v7, v6, v6
	v_mov_b32_e32 v14, 0x3ca908c9
	v_fmac_f32_e32 v14, 0xbbbac73d, v7
	v_fmaak_f32 v14, v7, v14, 0xbd5c1c4e
	v_fmaak_f32 v14, v7, v14, 0x3e088382
	;; [unrolled: 1-line block ×3, first 2 shown]
	v_mul_f32_e64 v14, |v6|, v14
	v_fma_f32 v7, v7, v14, |v6|
; %bb.20:                               ; %__ocml_tanh_f32.exit
	.loc	1 0 18 is_stmt 0                ; dyt_aot.py:0:18
	s_or_b64 exec, exec, s[0:1]
	.loc	1 23 26                         ; dyt_aot.py:23:26
	v_mul_f32_e32 v12, s6, v12
	s_mov_b32 s0, 0x3f200000
	.loc	1 23 18                         ; dyt_aot.py:23:18
	v_cmp_nlt_f32_e64 s[0:1], |v12|, s0
                                        ; implicit-def: $vgpr14
	s_and_saveexec_b64 s[2:3], s[0:1]
	s_xor_b64 s[2:3], exec, s[2:3]
	s_cbranch_execz .LBB0_22
; %bb.21:
	v_add_f32_e64 v14, |v12|, |v12|
	s_mov_b32 s0, 0x3fb8aa3b
	v_mul_f32_e32 v16, 0x3fb8aa3b, v14
	v_fma_f32 v17, v14, s0, -v16
	v_rndne_f32_e32 v16, v16
	v_fmamk_f32 v17, v14, 0x32a5705f, v17
	v_fma_f32 v18, v14, s0, -v16
	v_add_f32_e32 v17, v18, v17
	v_exp_f32_e32 v17, v17
	v_cvt_i32_f32_e32 v16, v16
	s_mov_b32 s0, 0xc2ce8ed0
	v_cmp_ngt_f32_e64 s[0:1], s0, v14
	v_ldexp_f32 v16, v17, v16
	s_nop 0
	v_cndmask_b32_e64 v16, 0, v16, s[0:1]
	s_mov_b32 s0, 0x42b17218
	v_mov_b32_e32 v17, 0x7f800000
	v_cmp_nlt_f32_e64 s[0:1], s0, v14
	s_nop 1
	v_cndmask_b32_e64 v14, v17, v16, s[0:1]
	v_add_f32_e32 v14, 1.0, v14
	v_rcp_f32_e32 v14, v14
	s_nop 0
	v_fma_f32 v14, v14, -2.0, 1.0
.LBB0_22:                               ; %Flow3
	.loc	1 0 18                          ; dyt_aot.py:0:18
	s_andn2_saveexec_b64 s[0:1], s[2:3]
; %bb.23:
	.loc	1 23 18 is_stmt 1               ; dyt_aot.py:23:18
	v_mul_f32_e32 v14, v12, v12
	v_mov_b32_e32 v16, 0x3ca908c9
	v_fmac_f32_e32 v16, 0xbbbac73d, v14
	v_fmaak_f32 v16, v14, v16, 0xbd5c1c4e
	v_fmaak_f32 v16, v14, v16, 0x3e088382
	;; [unrolled: 1-line block ×3, first 2 shown]
	v_mul_f32_e64 v16, |v12|, v16
	v_fma_f32 v14, v14, v16, |v12|
; %bb.24:                               ; %__ocml_tanh_f32.exit6
	.loc	1 0 18 is_stmt 0                ; dyt_aot.py:0:18
	s_or_b64 exec, exec, s[0:1]
	.loc	1 23 26                         ; dyt_aot.py:23:26
	v_mul_f32_e32 v15, s6, v15
	s_mov_b32 s0, 0x3f200000
	.loc	1 23 18                         ; dyt_aot.py:23:18
	v_cmp_nlt_f32_e64 s[0:1], |v15|, s0
                                        ; implicit-def: $vgpr16
	s_and_saveexec_b64 s[2:3], s[0:1]
	s_xor_b64 s[2:3], exec, s[2:3]
	s_cbranch_execz .LBB0_26
; %bb.25:
	v_add_f32_e64 v16, |v15|, |v15|
	s_mov_b32 s0, 0x3fb8aa3b
	v_mul_f32_e32 v17, 0x3fb8aa3b, v16
	v_fma_f32 v18, v16, s0, -v17
	v_rndne_f32_e32 v17, v17
	v_fmamk_f32 v18, v16, 0x32a5705f, v18
	v_fma_f32 v19, v16, s0, -v17
	v_add_f32_e32 v18, v19, v18
	v_exp_f32_e32 v18, v18
	v_cvt_i32_f32_e32 v17, v17
	s_mov_b32 s0, 0xc2ce8ed0
	v_cmp_ngt_f32_e64 s[0:1], s0, v16
	v_ldexp_f32 v17, v18, v17
	s_nop 0
	v_cndmask_b32_e64 v17, 0, v17, s[0:1]
	s_mov_b32 s0, 0x42b17218
	v_mov_b32_e32 v18, 0x7f800000
	v_cmp_nlt_f32_e64 s[0:1], s0, v16
	s_nop 1
	v_cndmask_b32_e64 v16, v18, v17, s[0:1]
	v_add_f32_e32 v16, 1.0, v16
	v_rcp_f32_e32 v16, v16
	s_nop 0
	v_fma_f32 v16, v16, -2.0, 1.0
.LBB0_26:                               ; %Flow2
	.loc	1 0 18                          ; dyt_aot.py:0:18
	s_andn2_saveexec_b64 s[0:1], s[2:3]
; %bb.27:
	.loc	1 23 18 is_stmt 1               ; dyt_aot.py:23:18
	v_mul_f32_e32 v16, v15, v15
	v_mov_b32_e32 v17, 0x3ca908c9
	v_fmac_f32_e32 v17, 0xbbbac73d, v16
	v_fmaak_f32 v17, v16, v17, 0xbd5c1c4e
	v_fmaak_f32 v17, v16, v17, 0x3e088382
	;; [unrolled: 1-line block ×3, first 2 shown]
	v_mul_f32_e64 v17, |v15|, v17
	v_fma_f32 v16, v16, v17, |v15|
; %bb.28:                               ; %__ocml_tanh_f32.exit7
	.loc	1 0 18 is_stmt 0                ; dyt_aot.py:0:18
	s_or_b64 exec, exec, s[0:1]
	.loc	1 23 26                         ; dyt_aot.py:23:26
	v_mul_f32_e32 v13, s6, v13
	s_mov_b32 s0, 0x3f200000
	.loc	1 23 18                         ; dyt_aot.py:23:18
	v_cmp_nlt_f32_e64 s[0:1], |v13|, s0
                                        ; implicit-def: $vgpr17
	s_and_saveexec_b64 s[2:3], s[0:1]
	s_xor_b64 s[2:3], exec, s[2:3]
	s_cbranch_execnz .LBB0_32
; %bb.29:                               ; %Flow
	.loc	1 0 18                          ; dyt_aot.py:0:18
	s_andn2_saveexec_b64 s[0:1], s[2:3]
	s_cbranch_execnz .LBB0_33
.LBB0_30:                               ; %__ocml_tanh_f32.exit8
	s_or_b64 exec, exec, s[0:1]
	.loc	1 26 23 is_stmt 1               ; dyt_aot.py:26:23
	s_and_saveexec_b64 s[0:1], vcc
	s_cbranch_execnz .LBB0_34
.LBB0_31:                               ; %.critedge4
	.loc	1 28 4                          ; dyt_aot.py:28:4
	s_endpgm
.LBB0_32:
	.loc	1 23 18                         ; dyt_aot.py:23:18
	v_add_f32_e64 v17, |v13|, |v13|
	s_mov_b32 s0, 0x3fb8aa3b
	v_mul_f32_e32 v18, 0x3fb8aa3b, v17
	v_fma_f32 v19, v17, s0, -v18
	v_rndne_f32_e32 v18, v18
	v_fmamk_f32 v19, v17, 0x32a5705f, v19
	v_fma_f32 v20, v17, s0, -v18
	v_add_f32_e32 v19, v20, v19
	v_exp_f32_e32 v19, v19
	v_cvt_i32_f32_e32 v18, v18
	s_mov_b32 s0, 0xc2ce8ed0
	v_cmp_ngt_f32_e64 s[0:1], s0, v17
	v_ldexp_f32 v18, v19, v18
	s_nop 0
	v_cndmask_b32_e64 v18, 0, v18, s[0:1]
	s_mov_b32 s0, 0x42b17218
	v_mov_b32_e32 v19, 0x7f800000
	v_cmp_nlt_f32_e64 s[0:1], s0, v17
	s_nop 1
	v_cndmask_b32_e64 v17, v19, v18, s[0:1]
	v_add_f32_e32 v17, 1.0, v17
	v_rcp_f32_e32 v17, v17
	s_nop 0
	v_fma_f32 v17, v17, -2.0, 1.0
	s_andn2_saveexec_b64 s[0:1], s[2:3]
	s_cbranch_execz .LBB0_30
.LBB0_33:
	.loc	1 23 18                         ; dyt_aot.py:23:18
	v_mul_f32_e32 v17, v13, v13
	v_mov_b32_e32 v18, 0x3ca908c9
	v_fmac_f32_e32 v18, 0xbbbac73d, v17
	v_fmaak_f32 v18, v17, v18, 0xbd5c1c4e
	v_fmaak_f32 v18, v17, v18, 0x3e088382
	;; [unrolled: 1-line block ×3, first 2 shown]
	v_mul_f32_e64 v18, |v13|, v18
	v_fma_f32 v17, v17, v18, |v13|
	s_or_b64 exec, exec, s[0:1]
	.loc	1 26 23                         ; dyt_aot.py:26:23
	s_and_saveexec_b64 s[0:1], vcc
	s_cbranch_execz .LBB0_31
.LBB0_34:                               ; %.critedge
	.loc	1 0 23 is_stmt 0                ; dyt_aot.py:0:23
	v_lshl_add_u64 v[18:19], v[0:1], 2, s[10:11]
	.loc	1 26 30                         ; dyt_aot.py:26:30
	v_lshlrev_b64 v[4:5], 2, v[4:5]
	v_lshlrev_b64 v[2:3], 2, v[2:3]
	v_lshl_add_u64 v[20:21], s[10:11], 0, v[4:5]
	v_lshl_add_u64 v[22:23], s[10:11], 0, v[2:3]
	.loc	1 26 23                         ; dyt_aot.py:26:23
	global_load_dword v24, v[18:19], off
	global_load_dword v25, v[18:19], off offset:2048
	global_load_dword v26, v[22:23], off
	global_load_dword v27, v[20:21], off
	s_lshl_b64 s[0:1], s[12:13], 11
	.loc	1 16 9 is_stmt 1                ; dyt_aot.py:16:9
	s_lshl_b64 s[0:1], s[0:1], 2
	.loc	1 23 18                         ; dyt_aot.py:23:18
	s_brev_b32 s2, -2
	.loc	1 16 9                          ; dyt_aot.py:16:9
	s_add_u32 s0, s4, s0
	.loc	1 23 18                         ; dyt_aot.py:23:18
	v_bfi_b32 v6, s2, v7, v6
	.loc	1 16 9                          ; dyt_aot.py:16:9
	s_addc_u32 s1, s5, s1
	.loc	1 23 18                         ; dyt_aot.py:23:18
	v_bfi_b32 v15, s2, v16, v15
	v_bfi_b32 v12, s2, v14, v12
	;; [unrolled: 1-line block ×3, first 2 shown]
	.loc	1 28 17                         ; dyt_aot.py:28:17
	v_lshl_add_u64 v[0:1], v[0:1], 2, s[0:1]
	v_lshl_add_u64 v[2:3], s[0:1], 0, v[2:3]
	;; [unrolled: 1-line block ×3, first 2 shown]
	.loc	1 27 13                         ; dyt_aot.py:27:13
	s_waitcnt vmcnt(3)
	v_fmac_f32_e32 v24, v9, v6
	s_waitcnt vmcnt(2)
	v_fmac_f32_e32 v25, v8, v12
	;; [unrolled: 2-line block ×4, first 2 shown]
	.loc	1 28 22                         ; dyt_aot.py:28:22
	global_store_dword v[0:1], v24, off
	global_store_dword v[0:1], v25, off offset:2048
	global_store_dword v[2:3], v26, off
	global_store_dword v[4:5], v27, off
	.loc	1 28 4 is_stmt 0                ; dyt_aot.py:28:4
	s_endpgm
.Ltmp2:
	.section	.rodata,"a",@progbits
	.p2align	6, 0x0
	.amdhsa_kernel _dyt_fwd_kernel
		.amdhsa_group_segment_fixed_size 0
		.amdhsa_private_segment_fixed_size 0
		.amdhsa_kernarg_size 56
		.amdhsa_user_sgpr_count 16
		.amdhsa_user_sgpr_dispatch_ptr 0
		.amdhsa_user_sgpr_queue_ptr 0
		.amdhsa_user_sgpr_kernarg_segment_ptr 1
		.amdhsa_user_sgpr_dispatch_id 0
		.amdhsa_user_sgpr_kernarg_preload_length 14
		.amdhsa_user_sgpr_kernarg_preload_offset 0
		.amdhsa_user_sgpr_private_segment_size 0
		.amdhsa_uses_dynamic_stack 0
		.amdhsa_enable_private_segment 0
		.amdhsa_system_sgpr_workgroup_id_x 1
		.amdhsa_system_sgpr_workgroup_id_y 1
		.amdhsa_system_sgpr_workgroup_id_z 0
		.amdhsa_system_sgpr_workgroup_info 0
		.amdhsa_system_vgpr_workitem_id 0
		.amdhsa_next_free_vgpr 28
		.amdhsa_next_free_sgpr 18
		.amdhsa_accum_offset 28
		.amdhsa_reserve_vcc 1
		.amdhsa_reserve_xnack_mask 1
		.amdhsa_float_round_mode_32 0
		.amdhsa_float_round_mode_16_64 0
		.amdhsa_float_denorm_mode_32 3
		.amdhsa_float_denorm_mode_16_64 3
		.amdhsa_dx10_clamp 1
		.amdhsa_ieee_mode 1
		.amdhsa_fp16_overflow 0
		.amdhsa_tg_split 0
		.amdhsa_exception_fp_ieee_invalid_op 0
		.amdhsa_exception_fp_denorm_src 0
		.amdhsa_exception_fp_ieee_div_zero 0
		.amdhsa_exception_fp_ieee_overflow 0
		.amdhsa_exception_fp_ieee_underflow 0
		.amdhsa_exception_fp_ieee_inexact 0
		.amdhsa_exception_int_div_zero 0
	.end_amdhsa_kernel
	.text
.Lfunc_end0:
	.size	_dyt_fwd_kernel, .Lfunc_end0-_dyt_fwd_kernel
	.cfi_endproc
                                        ; -- End function
	.set _dyt_fwd_kernel.num_vgpr, 28
	.set _dyt_fwd_kernel.num_agpr, 0
	.set _dyt_fwd_kernel.numbered_sgpr, 18
	.set _dyt_fwd_kernel.num_named_barrier, 0
	.set _dyt_fwd_kernel.private_seg_size, 0
	.set _dyt_fwd_kernel.uses_vcc, 1
	.set _dyt_fwd_kernel.uses_flat_scratch, 0
	.set _dyt_fwd_kernel.has_dyn_sized_stack, 0
	.set _dyt_fwd_kernel.has_recursion, 0
	.set _dyt_fwd_kernel.has_indirect_call, 0
	.section	.AMDGPU.csdata,"",@progbits
; Kernel info:
; codeLenInByte = 1876
; TotalNumSgprs: 24
; NumVgprs: 28
; NumAgprs: 0
; TotalNumVgprs: 28
; ScratchSize: 0
; MemoryBound: 0
; FloatMode: 240
; IeeeMode: 1
; LDSByteSize: 0 bytes/workgroup (compile time only)
; SGPRBlocks: 2
; VGPRBlocks: 3
; NumSGPRsForWavesPerEU: 24
; NumVGPRsForWavesPerEU: 28
; AccumOffset: 28
; Occupancy: 8
; WaveLimiterHint : 1
; COMPUTE_PGM_RSRC2:SCRATCH_EN: 0
; COMPUTE_PGM_RSRC2:USER_SGPR: 16
; COMPUTE_PGM_RSRC2:TRAP_HANDLER: 0
; COMPUTE_PGM_RSRC2:TGID_X_EN: 1
; COMPUTE_PGM_RSRC2:TGID_Y_EN: 1
; COMPUTE_PGM_RSRC2:TGID_Z_EN: 0
; COMPUTE_PGM_RSRC2:TIDIG_COMP_CNT: 0
; COMPUTE_PGM_RSRC3_GFX90A:ACCUM_OFFSET: 6
; COMPUTE_PGM_RSRC3_GFX90A:TG_SPLIT: 0
	.text
	.p2alignl 6, 3212836864
	.fill 256, 4, 3212836864
	.section	.AMDGPU.gpr_maximums,"",@progbits
	.set amdgpu.max_num_vgpr, 0
	.set amdgpu.max_num_agpr, 0
	.set amdgpu.max_num_sgpr, 0
	.set amdgpu.max_num_named_barrier, 0
	.text
	.section	.debug_abbrev,"",@progbits
	.byte	1                               ; Abbreviation Code
	.byte	17                              ; DW_TAG_compile_unit
	.byte	0                               ; DW_CHILDREN_no
	.byte	37                              ; DW_AT_producer
	.byte	14                              ; DW_FORM_strp
	.byte	19                              ; DW_AT_language
	.byte	5                               ; DW_FORM_data2
	.byte	3                               ; DW_AT_name
	.byte	14                              ; DW_FORM_strp
	.byte	16                              ; DW_AT_stmt_list
	.byte	23                              ; DW_FORM_sec_offset
	.byte	27                              ; DW_AT_comp_dir
	.byte	14                              ; DW_FORM_strp
	.byte	17                              ; DW_AT_low_pc
	.byte	1                               ; DW_FORM_addr
	.byte	18                              ; DW_AT_high_pc
	.byte	6                               ; DW_FORM_data4
	.byte	0                               ; EOM(1)
	.byte	0                               ; EOM(2)
	;; [unrolled: 1-line block ×3, first 2 shown]
	.section	.debug_info,"",@progbits
.Lcu_begin0:
	.long	.Ldebug_info_end0-.Ldebug_info_start0 ; Length of Unit
.Ldebug_info_start0:
	.short	4                               ; DWARF version number
	.long	.debug_abbrev                   ; Offset Into Abbrev. Section
	.byte	8                               ; Address Size (in bytes)
	.byte	1                               ; Abbrev [1] 0xb:0x1f DW_TAG_compile_unit
	.long	.Linfo_string0                  ; DW_AT_producer
	.short	2                               ; DW_AT_language
	.long	.Linfo_string1                  ; DW_AT_name
	.long	.Lline_table_start0             ; DW_AT_stmt_list
	.long	.Linfo_string2                  ; DW_AT_comp_dir
	.quad	.Lfunc_begin0                   ; DW_AT_low_pc
	.long	.Lfunc_end0-.Lfunc_begin0       ; DW_AT_high_pc
.Ldebug_info_end0:
	.section	.debug_str,"MS",@progbits,1
.Linfo_string0:
	.asciz	"triton"                        ; string offset=0
.Linfo_string1:
	.asciz	"dyt_aot.py"                    ; string offset=7
.Linfo_string2:
	.asciz	"/root/src/amdgpu-assembly/repos/linkedin__Liger-Kernel/triton_aot_kernels" ; string offset=18
	.section	".note.GNU-stack","",@progbits
	.amdgpu_metadata
---
amdhsa.kernels:
  - .agpr_count:     0
    .args:
      - .address_space:  global
        .offset:         0
        .size:           8
        .value_kind:     global_buffer
      - .address_space:  global
        .offset:         8
        .size:           8
        .value_kind:     global_buffer
      - .address_space:  global
        .offset:         16
        .size:           8
        .value_kind:     global_buffer
      - .address_space:  global
        .offset:         24
        .size:           8
        .value_kind:     global_buffer
      - .address_space:  global
        .offset:         32
        .size:           8
        .value_kind:     global_buffer
      - .address_space:  global
        .offset:         40
        .size:           8
        .value_kind:     global_buffer
      - .address_space:  global
        .offset:         48
        .size:           8
        .value_kind:     global_buffer
    .group_segment_fixed_size: 0
    .kernarg_segment_align: 8
    .kernarg_segment_size: 56
    .max_flat_workgroup_size: 512
    .name:           _dyt_fwd_kernel
    .private_segment_fixed_size: 0
    .sgpr_count:     24
    .sgpr_spill_count: 0
    .symbol:         _dyt_fwd_kernel.kd
    .uniform_work_group_size: 1
    .uses_dynamic_stack: false
    .vgpr_count:     28
    .vgpr_spill_count: 0
    .wavefront_size: 64
amdhsa.target:   amdgcn-amd-amdhsa--gfx950
amdhsa.version:
  - 1
  - 2
...

	.end_amdgpu_metadata
	.section	.debug_line,"",@progbits
.Lline_table_start0:
